;; amdgpu-corpus repo=zjin-lcf/HeCBench kind=compiled arch=gfx906 opt=O3
	.amdgcn_target "amdgcn-amd-amdhsa--gfx906"
	.amdhsa_code_object_version 6
	.text
	.protected	_Z15gaussian_kernelPKhPhii ; -- Begin function _Z15gaussian_kernelPKhPhii
	.globl	_Z15gaussian_kernelPKhPhii
	.p2align	8
	.type	_Z15gaussian_kernelPKhPhii,@function
_Z15gaussian_kernelPKhPhii:             ; @_Z15gaussian_kernelPKhPhii
; %bb.0:
	s_load_dword s2, s[4:5], 0x24
	s_load_dwordx2 s[0:1], s[4:5], 0x0
	s_load_dword s14, s[4:5], 0x14
	v_add_u32_e32 v4, 1, v1
	v_add_u32_e32 v10, 1, v0
	s_waitcnt lgkmcnt(0)
	s_lshr_b32 s3, s2, 16
	s_mul_i32 s7, s7, s3
	v_add_u32_e32 v2, s7, v4
	v_mul_lo_u32 v2, v2, s14
	s_and_b32 s13, s2, 0xffff
	s_mul_i32 s6, s6, s13
	v_mov_b32_e32 v3, s1
	v_add3_u32 v6, s6, v10, v2
	v_ashrrev_i32_e32 v7, 31, v6
	v_add_co_u32_e32 v2, vcc, s0, v6
	v_addc_co_u32_e32 v3, vcc, v3, v7, vcc
	global_load_ubyte v5, v[2:3], off
	s_add_i32 s12, s13, 2
	v_mul_u32_u24_e32 v8, s12, v4
	v_lshl_add_u32 v9, v8, 2, 0
	v_lshl_add_u32 v11, v0, 2, v9
	v_cmp_ne_u32_e32 vcc, 0, v1
	s_waitcnt vmcnt(0)
	ds_write_b32 v11, v5 offset:4
	s_and_saveexec_b64 s[2:3], vcc
	s_xor_b64 s[2:3], exec, s[2:3]
	s_cbranch_execz .LBB0_9
; %bb.1:
	v_cmp_eq_u32_e32 vcc, s13, v4
	s_and_saveexec_b64 s[6:7], vcc
	s_cbranch_execz .LBB0_8
; %bb.2:
	s_ashr_i32 s8, s14, 31
	v_mov_b32_e32 v5, s8
	v_add_co_u32_e32 v4, vcc, s14, v2
	v_addc_co_u32_e32 v5, vcc, v3, v5, vcc
	global_load_ubyte v11, v[4:5], off
	s_add_i32 s8, s13, 1
	s_mul_i32 s8, s8, s12
	s_lshl_b32 s8, s8, 2
	s_add_i32 s15, s8, 0
	v_lshl_add_u32 v12, v0, 2, s15
	v_cmp_ne_u32_e32 vcc, 0, v0
	s_waitcnt vmcnt(0)
	ds_write_b32 v12, v11 offset:4
	s_and_saveexec_b64 s[8:9], vcc
	s_xor_b64 s[8:9], exec, s[8:9]
	s_cbranch_execz .LBB0_6
; %bb.3:
	v_cmp_eq_u32_e32 vcc, s13, v10
	s_and_saveexec_b64 s[10:11], vcc
	s_cbranch_execz .LBB0_5
; %bb.4:
	global_load_ubyte v4, v[4:5], off offset:1
	s_lshl_b32 s16, s13, 2
	s_add_i32 s16, s15, s16
	v_mov_b32_e32 v5, s16
	s_waitcnt vmcnt(0)
	ds_write_b32 v5, v4 offset:4
.LBB0_5:
	s_or_b64 exec, exec, s[10:11]
                                        ; implicit-def: $vgpr4_vgpr5
.LBB0_6:
	s_andn2_saveexec_b64 s[8:9], s[8:9]
	s_cbranch_execz .LBB0_8
; %bb.7:
	global_load_ubyte v4, v[4:5], off offset:-1
	v_mov_b32_e32 v5, s15
	s_waitcnt vmcnt(0)
	ds_write_b32 v5, v4
.LBB0_8:
	s_or_b64 exec, exec, s[6:7]
.LBB0_9:
	s_or_saveexec_b64 s[2:3], s[2:3]
	v_lshl_add_u32 v11, v0, 2, 0
	s_xor_b64 exec, exec, s[2:3]
	s_cbranch_execz .LBB0_17
; %bb.10:
	v_subrev_u32_e32 v4, s14, v6
	v_ashrrev_i32_e32 v5, 31, v4
	v_mov_b32_e32 v12, s1
	v_add_co_u32_e32 v4, vcc, s0, v4
	v_addc_co_u32_e32 v5, vcc, v12, v5, vcc
	global_load_ubyte v12, v[4:5], off
	v_cmp_ne_u32_e32 vcc, 0, v0
	s_waitcnt vmcnt(0)
	ds_write_b32 v11, v12 offset:4
	s_and_saveexec_b64 s[0:1], vcc
	s_xor_b64 s[0:1], exec, s[0:1]
	s_cbranch_execz .LBB0_14
; %bb.11:
	v_cmp_eq_u32_e32 vcc, s13, v10
	s_and_saveexec_b64 s[6:7], vcc
	s_cbranch_execz .LBB0_13
; %bb.12:
	global_load_ubyte v4, v[4:5], off offset:1
	s_lshl_b32 s8, s13, 2
	s_add_i32 s8, s8, 0
	v_mov_b32_e32 v5, s8
	s_waitcnt vmcnt(0)
	ds_write_b32 v5, v4 offset:4
.LBB0_13:
	s_or_b64 exec, exec, s[6:7]
                                        ; implicit-def: $vgpr4_vgpr5
.LBB0_14:
	s_andn2_saveexec_b64 s[0:1], s[0:1]
	s_cbranch_execz .LBB0_16
; %bb.15:
	global_load_ubyte v4, v[4:5], off offset:-1
	v_mov_b32_e32 v5, 0
	s_waitcnt vmcnt(0)
	ds_write_b32 v5, v4
.LBB0_16:
	s_or_b64 exec, exec, s[0:1]
.LBB0_17:
	s_or_b64 exec, exec, s[2:3]
	s_load_dwordx2 s[8:9], s[4:5], 0x8
	v_cmp_ne_u32_e32 vcc, 0, v0
	s_and_saveexec_b64 s[0:1], vcc
	s_xor_b64 s[0:1], exec, s[0:1]
	s_cbranch_execz .LBB0_21
; %bb.18:
	v_cmp_eq_u32_e32 vcc, s13, v10
	s_and_saveexec_b64 s[2:3], vcc
	s_cbranch_execz .LBB0_20
; %bb.19:
	global_load_ubyte v0, v[2:3], off offset:1
	v_lshl_add_u32 v2, s13, 2, v9
	s_waitcnt vmcnt(0)
	ds_write_b32 v2, v0 offset:4
.LBB0_20:
	s_or_b64 exec, exec, s[2:3]
                                        ; implicit-def: $vgpr2_vgpr3
                                        ; implicit-def: $vgpr9
.LBB0_21:
	s_andn2_saveexec_b64 s[0:1], s[0:1]
	s_cbranch_execz .LBB0_23
; %bb.22:
	global_load_ubyte v0, v[2:3], off offset:-1
	s_waitcnt vmcnt(0)
	ds_write_b32 v9, v0
.LBB0_23:
	s_or_b64 exec, exec, s[0:1]
	v_mul_u32_u24_e32 v0, s12, v1
	v_lshl_add_u32 v2, v0, 2, v11
	s_waitcnt lgkmcnt(0)
	s_barrier
	ds_read2_b32 v[0:1], v2 offset1:1
	ds_read_b32 v3, v2 offset:8
	s_getpc_b64 s[10:11]
	s_add_u32 s10, s10, c_gaus@rel32@lo+4
	s_addc_u32 s11, s11, c_gaus@rel32@hi+12
	s_load_dwordx8 s[0:7], s[10:11], 0x0
	v_lshl_add_u32 v5, v8, 2, v11
	s_waitcnt lgkmcnt(0)
	v_cvt_f32_i32_e32 v0, v0
	v_cvt_f32_i32_e32 v1, v1
	;; [unrolled: 1-line block ×3, first 2 shown]
	v_lshl_add_u32 v8, s12, 3, v2
	v_mul_f32_e32 v0, s0, v0
	v_cvt_i32_f32_e32 v0, v0
	s_load_dword s0, s[10:11], 0x20
	v_cvt_f32_i32_e32 v0, v0
	v_fmac_f32_e32 v0, s1, v1
	v_cvt_i32_f32_e32 v0, v0
	v_cvt_f32_i32_e32 v4, v0
	ds_read2_b32 v[0:1], v5 offset1:1
	v_fmac_f32_e32 v4, s2, v3
	v_cvt_i32_f32_e32 v4, v4
	s_waitcnt lgkmcnt(0)
	v_cvt_f32_i32_e32 v0, v0
	v_cvt_f32_i32_e32 v1, v1
	ds_read_b32 v5, v5 offset:8
	ds_read2_b32 v[2:3], v8 offset1:1
	ds_read_b32 v8, v8 offset:8
	v_cvt_f32_i32_e32 v4, v4
	v_fmac_f32_e32 v4, s3, v0
	v_cvt_i32_f32_e32 v0, v4
	v_cvt_f32_i32_e32 v0, v0
	v_fmac_f32_e32 v0, s4, v1
	v_cvt_i32_f32_e32 v0, v0
	s_waitcnt lgkmcnt(2)
	v_cvt_f32_i32_e32 v1, v5
	v_cvt_f32_i32_e32 v0, v0
	v_fmac_f32_e32 v0, s5, v1
	v_cvt_i32_f32_e32 v0, v0
	s_waitcnt lgkmcnt(1)
	v_cvt_f32_i32_e32 v1, v2
	v_mov_b32_e32 v2, s9
	v_cvt_f32_i32_e32 v0, v0
	v_fmac_f32_e32 v0, s6, v1
	v_cvt_i32_f32_e32 v0, v0
	v_cvt_f32_i32_e32 v1, v3
	v_cvt_f32_i32_e32 v0, v0
	v_fmac_f32_e32 v0, s7, v1
	v_cvt_i32_f32_e32 v0, v0
	s_waitcnt lgkmcnt(0)
	v_cvt_f32_i32_e32 v1, v8
	v_cvt_f32_i32_e32 v0, v0
	v_fmac_f32_e32 v0, s0, v1
	v_cvt_i32_f32_e32 v0, v0
	v_mov_b32_e32 v1, 0xff
	v_med3_i32 v3, v0, 0, v1
	v_add_co_u32_e32 v0, vcc, s8, v6
	v_addc_co_u32_e32 v1, vcc, v2, v7, vcc
	global_store_byte v[0:1], v3, off
	s_endpgm
	.section	.rodata,"a",@progbits
	.p2align	6, 0x0
	.amdhsa_kernel _Z15gaussian_kernelPKhPhii
		.amdhsa_group_segment_fixed_size 0
		.amdhsa_private_segment_fixed_size 0
		.amdhsa_kernarg_size 280
		.amdhsa_user_sgpr_count 6
		.amdhsa_user_sgpr_private_segment_buffer 1
		.amdhsa_user_sgpr_dispatch_ptr 0
		.amdhsa_user_sgpr_queue_ptr 0
		.amdhsa_user_sgpr_kernarg_segment_ptr 1
		.amdhsa_user_sgpr_dispatch_id 0
		.amdhsa_user_sgpr_flat_scratch_init 0
		.amdhsa_user_sgpr_private_segment_size 0
		.amdhsa_uses_dynamic_stack 0
		.amdhsa_system_sgpr_private_segment_wavefront_offset 0
		.amdhsa_system_sgpr_workgroup_id_x 1
		.amdhsa_system_sgpr_workgroup_id_y 1
		.amdhsa_system_sgpr_workgroup_id_z 0
		.amdhsa_system_sgpr_workgroup_info 0
		.amdhsa_system_vgpr_workitem_id 1
		.amdhsa_next_free_vgpr 13
		.amdhsa_next_free_sgpr 17
		.amdhsa_reserve_vcc 1
		.amdhsa_reserve_flat_scratch 0
		.amdhsa_float_round_mode_32 0
		.amdhsa_float_round_mode_16_64 0
		.amdhsa_float_denorm_mode_32 3
		.amdhsa_float_denorm_mode_16_64 3
		.amdhsa_dx10_clamp 1
		.amdhsa_ieee_mode 1
		.amdhsa_fp16_overflow 0
		.amdhsa_exception_fp_ieee_invalid_op 0
		.amdhsa_exception_fp_denorm_src 0
		.amdhsa_exception_fp_ieee_div_zero 0
		.amdhsa_exception_fp_ieee_overflow 0
		.amdhsa_exception_fp_ieee_underflow 0
		.amdhsa_exception_fp_ieee_inexact 0
		.amdhsa_exception_int_div_zero 0
	.end_amdhsa_kernel
	.text
.Lfunc_end0:
	.size	_Z15gaussian_kernelPKhPhii, .Lfunc_end0-_Z15gaussian_kernelPKhPhii
                                        ; -- End function
	.set _Z15gaussian_kernelPKhPhii.num_vgpr, 13
	.set _Z15gaussian_kernelPKhPhii.num_agpr, 0
	.set _Z15gaussian_kernelPKhPhii.numbered_sgpr, 17
	.set _Z15gaussian_kernelPKhPhii.num_named_barrier, 0
	.set _Z15gaussian_kernelPKhPhii.private_seg_size, 0
	.set _Z15gaussian_kernelPKhPhii.uses_vcc, 1
	.set _Z15gaussian_kernelPKhPhii.uses_flat_scratch, 0
	.set _Z15gaussian_kernelPKhPhii.has_dyn_sized_stack, 0
	.set _Z15gaussian_kernelPKhPhii.has_recursion, 0
	.set _Z15gaussian_kernelPKhPhii.has_indirect_call, 0
	.section	.AMDGPU.csdata,"",@progbits
; Kernel info:
; codeLenInByte = 908
; TotalNumSgprs: 21
; NumVgprs: 13
; ScratchSize: 0
; MemoryBound: 0
; FloatMode: 240
; IeeeMode: 1
; LDSByteSize: 0 bytes/workgroup (compile time only)
; SGPRBlocks: 2
; VGPRBlocks: 3
; NumSGPRsForWavesPerEU: 21
; NumVGPRsForWavesPerEU: 13
; Occupancy: 10
; WaveLimiterHint : 0
; COMPUTE_PGM_RSRC2:SCRATCH_EN: 0
; COMPUTE_PGM_RSRC2:USER_SGPR: 6
; COMPUTE_PGM_RSRC2:TRAP_HANDLER: 0
; COMPUTE_PGM_RSRC2:TGID_X_EN: 1
; COMPUTE_PGM_RSRC2:TGID_Y_EN: 1
; COMPUTE_PGM_RSRC2:TGID_Z_EN: 0
; COMPUTE_PGM_RSRC2:TIDIG_COMP_CNT: 1
	.text
	.protected	_Z12sobel_kernelPKhPhS1_ii ; -- Begin function _Z12sobel_kernelPKhPhS1_ii
	.globl	_Z12sobel_kernelPKhPhS1_ii
	.p2align	8
	.type	_Z12sobel_kernelPKhPhS1_ii,@function
_Z12sobel_kernelPKhPhS1_ii:             ; @_Z12sobel_kernelPKhPhS1_ii
; %bb.0:
	s_load_dword s2, s[4:5], 0x2c
	s_load_dwordx2 s[0:1], s[4:5], 0x0
	s_load_dword s13, s[4:5], 0x1c
	v_add_u32_e32 v6, 1, v1
	v_add_u32_e32 v10, 1, v0
	s_waitcnt lgkmcnt(0)
	s_lshr_b32 s3, s2, 16
	s_mul_i32 s7, s7, s3
	v_add_u32_e32 v2, s7, v6
	v_mul_lo_u32 v2, v2, s13
	s_and_b32 s12, s2, 0xffff
	s_mul_i32 s6, s6, s12
	v_mov_b32_e32 v5, s1
	v_add3_u32 v2, s6, v10, v2
	v_ashrrev_i32_e32 v3, 31, v2
	v_add_co_u32_e32 v4, vcc, s0, v2
	v_addc_co_u32_e32 v5, vcc, v5, v3, vcc
	global_load_ubyte v7, v[4:5], off
	s_add_i32 s24, s12, 2
	v_mul_u32_u24_e32 v8, s24, v6
	v_lshl_add_u32 v9, v8, 2, 0
	v_lshl_add_u32 v11, v0, 2, v9
	v_cmp_ne_u32_e32 vcc, 0, v1
	s_waitcnt vmcnt(0)
	ds_write_b32 v11, v7 offset:4
	s_and_saveexec_b64 s[2:3], vcc
	s_xor_b64 s[2:3], exec, s[2:3]
	s_cbranch_execz .LBB1_9
; %bb.1:
	v_cmp_eq_u32_e32 vcc, s12, v6
	s_and_saveexec_b64 s[6:7], vcc
	s_cbranch_execz .LBB1_8
; %bb.2:
	s_ashr_i32 s8, s13, 31
	v_mov_b32_e32 v7, s8
	v_add_co_u32_e32 v6, vcc, s13, v4
	v_addc_co_u32_e32 v7, vcc, v5, v7, vcc
	global_load_ubyte v11, v[6:7], off
	s_add_i32 s8, s12, 1
	s_mul_i32 s8, s8, s24
	s_lshl_b32 s8, s8, 2
	s_add_i32 s14, s8, 0
	v_lshl_add_u32 v12, v0, 2, s14
	v_cmp_ne_u32_e32 vcc, 0, v0
	s_waitcnt vmcnt(0)
	ds_write_b32 v12, v11 offset:4
	s_and_saveexec_b64 s[8:9], vcc
	s_xor_b64 s[8:9], exec, s[8:9]
	s_cbranch_execz .LBB1_6
; %bb.3:
	v_cmp_eq_u32_e32 vcc, s12, v10
	s_and_saveexec_b64 s[10:11], vcc
	s_cbranch_execz .LBB1_5
; %bb.4:
	global_load_ubyte v6, v[6:7], off offset:1
	s_lshl_b32 s15, s12, 2
	s_add_i32 s15, s14, s15
	v_mov_b32_e32 v7, s15
	s_waitcnt vmcnt(0)
	ds_write_b32 v7, v6 offset:4
.LBB1_5:
	s_or_b64 exec, exec, s[10:11]
                                        ; implicit-def: $vgpr6_vgpr7
.LBB1_6:
	s_andn2_saveexec_b64 s[8:9], s[8:9]
	s_cbranch_execz .LBB1_8
; %bb.7:
	global_load_ubyte v6, v[6:7], off offset:-1
	v_mov_b32_e32 v7, s14
	s_waitcnt vmcnt(0)
	ds_write_b32 v7, v6
.LBB1_8:
	s_or_b64 exec, exec, s[6:7]
.LBB1_9:
	s_or_saveexec_b64 s[2:3], s[2:3]
	v_lshl_add_u32 v11, v0, 2, 0
	s_xor_b64 exec, exec, s[2:3]
	s_cbranch_execz .LBB1_17
; %bb.10:
	v_subrev_u32_e32 v6, s13, v2
	v_ashrrev_i32_e32 v7, 31, v6
	v_mov_b32_e32 v12, s1
	v_add_co_u32_e32 v6, vcc, s0, v6
	v_addc_co_u32_e32 v7, vcc, v12, v7, vcc
	global_load_ubyte v12, v[6:7], off
	v_cmp_ne_u32_e32 vcc, 0, v0
	s_waitcnt vmcnt(0)
	ds_write_b32 v11, v12 offset:4
	s_and_saveexec_b64 s[0:1], vcc
	s_xor_b64 s[0:1], exec, s[0:1]
	s_cbranch_execz .LBB1_14
; %bb.11:
	v_cmp_eq_u32_e32 vcc, s12, v10
	s_and_saveexec_b64 s[6:7], vcc
	s_cbranch_execz .LBB1_13
; %bb.12:
	global_load_ubyte v6, v[6:7], off offset:1
	s_lshl_b32 s8, s12, 2
	s_add_i32 s8, s8, 0
	v_mov_b32_e32 v7, s8
	s_waitcnt vmcnt(0)
	ds_write_b32 v7, v6 offset:4
.LBB1_13:
	s_or_b64 exec, exec, s[6:7]
                                        ; implicit-def: $vgpr6_vgpr7
.LBB1_14:
	s_andn2_saveexec_b64 s[0:1], s[0:1]
	s_cbranch_execz .LBB1_16
; %bb.15:
	global_load_ubyte v6, v[6:7], off offset:-1
	v_mov_b32_e32 v7, 0
	s_waitcnt vmcnt(0)
	ds_write_b32 v7, v6
.LBB1_16:
	s_or_b64 exec, exec, s[0:1]
.LBB1_17:
	s_or_b64 exec, exec, s[2:3]
	s_load_dwordx2 s[0:1], s[4:5], 0x8
	v_cmp_ne_u32_e32 vcc, 0, v0
	s_and_saveexec_b64 s[2:3], vcc
	s_xor_b64 s[2:3], exec, s[2:3]
	s_cbranch_execz .LBB1_21
; %bb.18:
	v_cmp_eq_u32_e32 vcc, s12, v10
	s_and_saveexec_b64 s[6:7], vcc
	s_cbranch_execz .LBB1_20
; %bb.19:
	global_load_ubyte v0, v[4:5], off offset:1
	v_lshl_add_u32 v4, s12, 2, v9
	s_waitcnt vmcnt(0)
	ds_write_b32 v4, v0 offset:4
.LBB1_20:
	s_or_b64 exec, exec, s[6:7]
                                        ; implicit-def: $vgpr4_vgpr5
                                        ; implicit-def: $vgpr9
.LBB1_21:
	s_andn2_saveexec_b64 s[2:3], s[2:3]
	s_cbranch_execz .LBB1_23
; %bb.22:
	global_load_ubyte v0, v[4:5], off offset:-1
	s_waitcnt vmcnt(0)
	ds_write_b32 v9, v0
.LBB1_23:
	s_or_b64 exec, exec, s[2:3]
	v_mul_u32_u24_e32 v0, s24, v1
	s_getpc_b64 s[2:3]
	s_add_u32 s2, s2, c_sobx@rel32@lo+4
	s_addc_u32 s3, s3, c_sobx@rel32@hi+12
	v_lshl_add_u32 v4, v0, 2, v11
	s_load_dwordx8 s[8:15], s[2:3], 0x0
	s_getpc_b64 s[2:3]
	s_add_u32 s2, s2, c_soby@rel32@lo+4
	s_addc_u32 s3, s3, c_soby@rel32@hi+12
	s_waitcnt lgkmcnt(0)
	s_barrier
	ds_read2_b32 v[0:1], v4 offset1:1
	ds_read_b32 v5, v4 offset:8
	s_load_dwordx8 s[16:23], s[2:3], 0x0
	s_getpc_b64 s[2:3]
	s_add_u32 s2, s2, c_sobx@rel32@lo+36
	s_addc_u32 s3, s3, c_sobx@rel32@hi+44
	s_load_dword s6, s[2:3], 0x0
	s_waitcnt lgkmcnt(0)
	v_mul_lo_u32 v6, v0, s8
	v_mul_lo_u32 v7, v1, s9
	;; [unrolled: 1-line block ×6, first 2 shown]
	v_cvt_f32_i32_e32 v0, v0
	v_cvt_f32_i32_e32 v1, v1
	;; [unrolled: 1-line block ×5, first 2 shown]
	v_add_f32_e32 v0, v0, v1
	v_cvt_f32_i32_e32 v9, v9
	v_add_f32_e32 v6, v6, v7
	v_add_f32_e32 v7, v0, v5
	v_lshl_add_u32 v5, v8, 2, v11
	ds_read2_b32 v[0:1], v5 offset1:1
	v_lshl_add_u32 v8, s24, 3, v4
	v_add_f32_e32 v6, v6, v9
	ds_read_b32 v9, v5 offset:8
	ds_read2_b32 v[4:5], v8 offset1:1
	ds_read_b32 v8, v8 offset:8
	s_getpc_b64 s[2:3]
	s_add_u32 s2, s2, c_soby@rel32@lo+36
	s_addc_u32 s3, s3, c_soby@rel32@hi+44
	s_waitcnt lgkmcnt(3)
	v_mul_lo_u32 v10, v0, s11
	v_mul_lo_u32 v0, s19, v0
	;; [unrolled: 1-line block ×4, first 2 shown]
	v_cvt_f32_i32_e32 v10, v10
	v_cvt_f32_i32_e32 v0, v0
	s_load_dword s2, s[2:3], 0x0
	v_cvt_f32_i32_e32 v1, v1
	v_cvt_f32_i32_e32 v11, v11
	v_add_f32_e32 v0, v7, v0
	s_waitcnt lgkmcnt(0)
	v_mul_lo_u32 v7, s21, v9
	v_add_f32_e32 v0, v0, v1
	v_mul_lo_u32 v1, v9, s13
	v_mul_lo_u32 v9, v4, s14
	;; [unrolled: 1-line block ×3, first 2 shown]
	v_cvt_f32_i32_e32 v7, v7
	v_cvt_f32_i32_e32 v1, v1
	v_add_f32_e32 v6, v6, v10
	v_cvt_f32_i32_e32 v4, v4
	v_add_f32_e32 v0, v0, v7
	v_add_f32_e32 v6, v6, v11
	;; [unrolled: 1-line block ×4, first 2 shown]
	v_mul_lo_u32 v4, v5, s15
	v_mul_lo_u32 v5, s23, v5
	;; [unrolled: 1-line block ×4, first 2 shown]
	v_cvt_f32_i32_e32 v9, v9
	v_cvt_f32_i32_e32 v4, v4
	;; [unrolled: 1-line block ×5, first 2 shown]
	v_add_f32_e32 v1, v1, v9
	v_add_f32_e32 v1, v1, v4
	v_add_f32_e32 v0, v0, v5
	v_add_f32_e32 v4, v1, v6
	v_add_f32_e32 v5, v0, v7
	v_max_f32_e64 v6, |v4|, |v5|
	v_cvt_f64_f32_e32 v[0:1], v6
	s_mov_b32 s2, 0x7f800000
	v_cmp_neq_f32_e32 vcc, s2, v6
	s_load_dwordx2 s[2:3], s[4:5], 0x10
	v_frexp_exp_i32_f64_e32 v0, v[0:1]
	s_movk_i32 s4, 0x204
	v_sub_u32_e32 v1, 0, v0
	v_ldexp_f32 v7, |v4|, v1
	v_ldexp_f32 v1, |v5|, v1
	v_mul_f32_e32 v1, v1, v1
	v_fmac_f32_e32 v1, v7, v7
	v_sqrt_f32_e32 v1, v1
	v_ldexp_f32 v0, v1, v0
	v_mov_b32_e32 v1, 0x7f800000
	v_cndmask_b32_e32 v0, v1, v0, vcc
	v_cvt_i32_f32_e32 v0, v0
	v_mov_b32_e32 v1, 0xff
	v_med3_i32 v7, v0, 0, v1
	v_mov_b32_e32 v1, s1
	v_add_co_u32_e32 v0, vcc, s0, v2
	v_addc_co_u32_e32 v1, vcc, v1, v3, vcc
	global_store_byte v[0:1], v7, off
	v_frexp_mant_f32_e32 v1, v6
	v_rcp_f32_e32 v1, v1
	v_min_f32_e64 v0, |v4|, |v5|
	v_frexp_exp_i32_f32_e32 v6, v6
	v_frexp_exp_i32_f32_e32 v7, v0
	v_frexp_mant_f32_e32 v0, v0
	v_mul_f32_e32 v0, v0, v1
	v_sub_u32_e32 v1, v7, v6
	v_ldexp_f32 v0, v0, v1
	v_mul_f32_e32 v1, v0, v0
	v_mov_b32_e32 v6, 0xbc7a590c
	v_fmac_f32_e32 v6, 0x3b2d2a58, v1
	v_mov_b32_e32 v7, 0x3d29fb3f
	v_fmac_f32_e32 v7, v1, v6
	;; [unrolled: 2-line block ×7, first 2 shown]
	v_mul_f32_e32 v1, v1, v6
	v_fmac_f32_e32 v0, v0, v1
	v_sub_f32_e32 v1, 0x3fc90fdb, v0
	v_cmp_gt_f32_e64 vcc, |v5|, |v4|
	v_cndmask_b32_e32 v0, v0, v1, vcc
	v_sub_f32_e32 v1, 0x40490fdb, v0
	v_cmp_gt_f32_e32 vcc, 0, v4
	v_cndmask_b32_e32 v0, v0, v1, vcc
	v_mov_b32_e32 v1, 0x40490fdb
	v_cmp_gt_i32_e64 s[0:1], 0, v4
	v_cndmask_b32_e64 v1, 0, v1, s[0:1]
	v_cmp_eq_f32_e64 s[0:1], 0, v5
	v_cndmask_b32_e64 v0, v0, v1, s[0:1]
	v_mov_b32_e32 v1, 0x3f490fdb
	v_mov_b32_e32 v6, 0x4016cbe4
	v_cmp_class_f32_e64 s[0:1], v4, s4
	v_cmp_class_f32_e64 s[4:5], v5, s4
	v_cndmask_b32_e32 v1, v1, v6, vcc
	s_and_b64 vcc, s[0:1], s[4:5]
	v_cndmask_b32_e32 v0, v0, v1, vcc
	v_mov_b32_e32 v1, 0x7fc00000
	v_cmp_o_f32_e32 vcc, v4, v5
	v_cndmask_b32_e32 v0, v1, v0, vcc
	s_brev_b32 s0, -2
	v_bfi_b32 v0, s0, v0, v5
	v_cmp_gt_f32_e32 vcc, 0, v0
	s_and_saveexec_b64 s[0:1], vcc
	s_cbranch_execz .LBB1_33
; %bb.24:
	s_mov_b32 s6, 0x40c90fdb
	v_add_f32_e32 v0, 0x40c90fdb, v0
	v_cmp_ngt_f32_e64 s[4:5], |v0|, s6
                                        ; implicit-def: $vgpr1
	s_and_saveexec_b64 s[8:9], s[4:5]
	s_xor_b64 s[4:5], exec, s[8:9]
; %bb.25:
	s_brev_b32 s7, -2
	v_bfi_b32 v1, s7, 0, v0
	v_cmp_eq_f32_e64 vcc, |v0|, s6
	v_cndmask_b32_e32 v1, v0, v1, vcc
; %bb.26:
	s_andn2_saveexec_b64 s[4:5], s[4:5]
	s_cbranch_execz .LBB1_32
; %bb.27:
	v_and_b32_e32 v1, 0x7fffffff, v0
	v_cvt_f64_f32_e32 v[4:5], v1
	v_frexp_mant_f32_e64 v1, |v0|
	v_ldexp_f32 v1, v1, 12
	v_frexp_exp_i32_f64_e32 v5, v[4:5]
	v_add_u32_e32 v4, -3, v5
	v_cmp_lt_i32_e32 vcc, 12, v4
	s_and_saveexec_b64 s[6:7], vcc
	s_cbranch_execz .LBB1_31
; %bb.28:
	v_add_u32_e32 v5, 9, v5
	s_mov_b64 s[8:9], 0
.LBB1_29:                               ; =>This Inner Loop Header: Depth=1
	v_mov_b32_e32 v4, v5
	v_mul_f32_e32 v5, 0x3f22f983, v1
	v_rndne_f32_e32 v5, v5
	v_fmac_f32_e32 v1, 0xbfc90fdb, v5
	v_add_f32_e32 v5, 0x3fc90fdb, v1
	v_cmp_gt_f32_e32 vcc, 0, v1
	v_cndmask_b32_e32 v1, v1, v5, vcc
	v_add_u32_e32 v5, -12, v4
	v_cmp_gt_u32_e32 vcc, 25, v5
	s_or_b64 s[8:9], vcc, s[8:9]
	v_ldexp_f32 v1, v1, 12
	s_andn2_b64 exec, exec, s[8:9]
	s_cbranch_execnz .LBB1_29
; %bb.30:
	s_or_b64 exec, exec, s[8:9]
	v_subrev_u32_e32 v4, 24, v4
.LBB1_31:
	s_or_b64 exec, exec, s[6:7]
	v_add_u32_e32 v4, -11, v4
	v_ldexp_f32 v1, v1, v4
	v_mul_f32_e32 v4, 0x3f22f983, v1
	v_rndne_f32_e32 v4, v4
	v_fmac_f32_e32 v1, 0xbfc90fdb, v4
	v_add_f32_e32 v4, 0x3fc90fdb, v1
	v_cmp_gt_f32_e32 vcc, 0, v1
	v_cndmask_b32_e32 v1, v1, v4, vcc
	v_ldexp_f32 v1, v1, 2
	v_and_b32_e32 v4, 0x80000000, v0
	v_xor_b32_e32 v1, v4, v1
.LBB1_32:
	s_or_b64 exec, exec, s[4:5]
	s_movk_i32 s4, 0x1f8
	v_mov_b32_e32 v4, 0x7fc00000
	v_cmp_class_f32_e64 vcc, v0, s4
	v_cndmask_b32_e32 v0, v4, v1, vcc
.LBB1_33:
	s_or_b64 exec, exec, s[0:1]
	s_mov_b32 s0, 0x3ec90fdb
	v_cmp_ge_f32_e32 vcc, s0, v0
	s_and_saveexec_b64 s[0:1], vcc
	s_xor_b64 s[0:1], exec, s[0:1]
	s_cbranch_execz .LBB1_35
; %bb.34:
	s_waitcnt lgkmcnt(0)
	v_mov_b32_e32 v1, s3
	v_add_co_u32_e32 v0, vcc, s2, v2
	v_addc_co_u32_e32 v1, vcc, v1, v3, vcc
	v_mov_b32_e32 v2, 0
	global_store_byte v[0:1], v2, off
                                        ; implicit-def: $vgpr0
                                        ; implicit-def: $vgpr2_vgpr3
.LBB1_35:
	s_andn2_saveexec_b64 s[0:1], s[0:1]
	s_cbranch_execz .LBB1_58
; %bb.36:
	s_mov_b32 s0, 0x3f96cbe4
	v_cmp_ge_f32_e32 vcc, s0, v0
	s_and_saveexec_b64 s[0:1], vcc
	s_xor_b64 s[0:1], exec, s[0:1]
	s_cbranch_execz .LBB1_38
; %bb.37:
	s_waitcnt lgkmcnt(0)
	v_mov_b32_e32 v1, s3
	v_add_co_u32_e32 v0, vcc, s2, v2
	v_addc_co_u32_e32 v1, vcc, v1, v3, vcc
	v_mov_b32_e32 v2, 45
	global_store_byte v[0:1], v2, off
                                        ; implicit-def: $vgpr0
                                        ; implicit-def: $vgpr2_vgpr3
.LBB1_38:
	s_andn2_saveexec_b64 s[0:1], s[0:1]
	s_cbranch_execz .LBB1_58
; %bb.39:
	;; [unrolled: 18-line block ×7, first 2 shown]
	s_mov_b32 s0, 0x40bc7edd
	v_cmp_ge_f32_e32 vcc, s0, v0
	s_waitcnt lgkmcnt(0)
	v_mov_b32_e32 v1, s3
	v_add_co_u32_e64 v0, s[0:1], s2, v2
	v_addc_co_u32_e64 v1, s[0:1], v1, v3, s[0:1]
	s_and_saveexec_b64 s[0:1], vcc
	s_xor_b64 s[0:1], exec, s[0:1]
	s_cbranch_execz .LBB1_56
; %bb.55:
	v_mov_b32_e32 v2, 0x87
	global_store_byte v[0:1], v2, off
                                        ; implicit-def: $vgpr0_vgpr1
.LBB1_56:
	s_andn2_saveexec_b64 s[0:1], s[0:1]
	s_cbranch_execz .LBB1_58
; %bb.57:
	v_mov_b32_e32 v2, 0
	global_store_byte v[0:1], v2, off
.LBB1_58:
	s_endpgm
	.section	.rodata,"a",@progbits
	.p2align	6, 0x0
	.amdhsa_kernel _Z12sobel_kernelPKhPhS1_ii
		.amdhsa_group_segment_fixed_size 0
		.amdhsa_private_segment_fixed_size 0
		.amdhsa_kernarg_size 288
		.amdhsa_user_sgpr_count 6
		.amdhsa_user_sgpr_private_segment_buffer 1
		.amdhsa_user_sgpr_dispatch_ptr 0
		.amdhsa_user_sgpr_queue_ptr 0
		.amdhsa_user_sgpr_kernarg_segment_ptr 1
		.amdhsa_user_sgpr_dispatch_id 0
		.amdhsa_user_sgpr_flat_scratch_init 0
		.amdhsa_user_sgpr_private_segment_size 0
		.amdhsa_uses_dynamic_stack 0
		.amdhsa_system_sgpr_private_segment_wavefront_offset 0
		.amdhsa_system_sgpr_workgroup_id_x 1
		.amdhsa_system_sgpr_workgroup_id_y 1
		.amdhsa_system_sgpr_workgroup_id_z 0
		.amdhsa_system_sgpr_workgroup_info 0
		.amdhsa_system_vgpr_workitem_id 1
		.amdhsa_next_free_vgpr 13
		.amdhsa_next_free_sgpr 25
		.amdhsa_reserve_vcc 1
		.amdhsa_reserve_flat_scratch 0
		.amdhsa_float_round_mode_32 0
		.amdhsa_float_round_mode_16_64 0
		.amdhsa_float_denorm_mode_32 3
		.amdhsa_float_denorm_mode_16_64 3
		.amdhsa_dx10_clamp 1
		.amdhsa_ieee_mode 1
		.amdhsa_fp16_overflow 0
		.amdhsa_exception_fp_ieee_invalid_op 0
		.amdhsa_exception_fp_denorm_src 0
		.amdhsa_exception_fp_ieee_div_zero 0
		.amdhsa_exception_fp_ieee_overflow 0
		.amdhsa_exception_fp_ieee_underflow 0
		.amdhsa_exception_fp_ieee_inexact 0
		.amdhsa_exception_int_div_zero 0
	.end_amdhsa_kernel
	.text
.Lfunc_end1:
	.size	_Z12sobel_kernelPKhPhS1_ii, .Lfunc_end1-_Z12sobel_kernelPKhPhS1_ii
                                        ; -- End function
	.set _Z12sobel_kernelPKhPhS1_ii.num_vgpr, 13
	.set _Z12sobel_kernelPKhPhS1_ii.num_agpr, 0
	.set _Z12sobel_kernelPKhPhS1_ii.numbered_sgpr, 25
	.set _Z12sobel_kernelPKhPhS1_ii.num_named_barrier, 0
	.set _Z12sobel_kernelPKhPhS1_ii.private_seg_size, 0
	.set _Z12sobel_kernelPKhPhS1_ii.uses_vcc, 1
	.set _Z12sobel_kernelPKhPhS1_ii.uses_flat_scratch, 0
	.set _Z12sobel_kernelPKhPhS1_ii.has_dyn_sized_stack, 0
	.set _Z12sobel_kernelPKhPhS1_ii.has_recursion, 0
	.set _Z12sobel_kernelPKhPhS1_ii.has_indirect_call, 0
	.section	.AMDGPU.csdata,"",@progbits
; Kernel info:
; codeLenInByte = 2332
; TotalNumSgprs: 29
; NumVgprs: 13
; ScratchSize: 0
; MemoryBound: 0
; FloatMode: 240
; IeeeMode: 1
; LDSByteSize: 0 bytes/workgroup (compile time only)
; SGPRBlocks: 3
; VGPRBlocks: 3
; NumSGPRsForWavesPerEU: 29
; NumVGPRsForWavesPerEU: 13
; Occupancy: 10
; WaveLimiterHint : 0
; COMPUTE_PGM_RSRC2:SCRATCH_EN: 0
; COMPUTE_PGM_RSRC2:USER_SGPR: 6
; COMPUTE_PGM_RSRC2:TRAP_HANDLER: 0
; COMPUTE_PGM_RSRC2:TGID_X_EN: 1
; COMPUTE_PGM_RSRC2:TGID_Y_EN: 1
; COMPUTE_PGM_RSRC2:TGID_Z_EN: 0
; COMPUTE_PGM_RSRC2:TIDIG_COMP_CNT: 1
	.text
	.protected	_Z19non_max_supp_kernelPKhPhS0_ii ; -- Begin function _Z19non_max_supp_kernelPKhPhS0_ii
	.globl	_Z19non_max_supp_kernelPKhPhS0_ii
	.p2align	8
	.type	_Z19non_max_supp_kernelPKhPhS0_ii,@function
_Z19non_max_supp_kernelPKhPhS0_ii:      ; @_Z19non_max_supp_kernelPKhPhS0_ii
; %bb.0:
	s_load_dword s2, s[4:5], 0x2c
	s_load_dwordx2 s[0:1], s[4:5], 0x0
	s_load_dword s14, s[4:5], 0x1c
	v_add_u32_e32 v4, 1, v1
	v_add_u32_e32 v10, 1, v0
	s_waitcnt lgkmcnt(0)
	s_lshr_b32 s3, s2, 16
	s_mul_i32 s7, s7, s3
	v_add_u32_e32 v2, s7, v4
	v_mul_lo_u32 v2, v2, s14
	s_and_b32 s13, s2, 0xffff
	s_mul_i32 s6, s6, s13
	v_mov_b32_e32 v3, s1
	v_add3_u32 v6, s6, v10, v2
	v_ashrrev_i32_e32 v7, 31, v6
	v_add_co_u32_e32 v2, vcc, s0, v6
	v_addc_co_u32_e32 v3, vcc, v3, v7, vcc
	global_load_ubyte v5, v[2:3], off
	s_add_i32 s12, s13, 2
	v_mul_u32_u24_e32 v8, s12, v4
	v_lshl_add_u32 v9, v8, 2, 0
	v_lshl_add_u32 v8, v0, 2, v9
	v_cmp_ne_u32_e32 vcc, 0, v1
	s_waitcnt vmcnt(0)
	ds_write_b32 v8, v5 offset:4
	s_and_saveexec_b64 s[2:3], vcc
	s_xor_b64 s[2:3], exec, s[2:3]
	s_cbranch_execz .LBB2_9
; %bb.1:
	v_cmp_eq_u32_e32 vcc, s13, v4
	s_and_saveexec_b64 s[6:7], vcc
	s_cbranch_execz .LBB2_8
; %bb.2:
	s_ashr_i32 s8, s14, 31
	v_mov_b32_e32 v5, s8
	v_add_co_u32_e32 v4, vcc, s14, v2
	v_addc_co_u32_e32 v5, vcc, v3, v5, vcc
	global_load_ubyte v11, v[4:5], off
	s_add_i32 s8, s13, 1
	s_mul_i32 s8, s8, s12
	s_lshl_b32 s8, s8, 2
	s_add_i32 s15, s8, 0
	v_lshl_add_u32 v12, v0, 2, s15
	v_cmp_ne_u32_e32 vcc, 0, v0
	s_waitcnt vmcnt(0)
	ds_write_b32 v12, v11 offset:4
	s_and_saveexec_b64 s[8:9], vcc
	s_xor_b64 s[8:9], exec, s[8:9]
	s_cbranch_execz .LBB2_6
; %bb.3:
	v_cmp_eq_u32_e32 vcc, s13, v10
	s_and_saveexec_b64 s[10:11], vcc
	s_cbranch_execz .LBB2_5
; %bb.4:
	global_load_ubyte v4, v[4:5], off offset:1
	s_lshl_b32 s16, s13, 2
	s_add_i32 s16, s15, s16
	v_mov_b32_e32 v5, s16
	s_waitcnt vmcnt(0)
	ds_write_b32 v5, v4 offset:4
.LBB2_5:
	s_or_b64 exec, exec, s[10:11]
                                        ; implicit-def: $vgpr4_vgpr5
.LBB2_6:
	s_andn2_saveexec_b64 s[8:9], s[8:9]
	s_cbranch_execz .LBB2_8
; %bb.7:
	global_load_ubyte v4, v[4:5], off offset:-1
	v_mov_b32_e32 v5, s15
	s_waitcnt vmcnt(0)
	ds_write_b32 v5, v4
.LBB2_8:
	s_or_b64 exec, exec, s[6:7]
.LBB2_9:
	s_andn2_saveexec_b64 s[2:3], s[2:3]
	s_cbranch_execz .LBB2_17
; %bb.10:
	v_subrev_u32_e32 v4, s14, v6
	v_ashrrev_i32_e32 v5, 31, v4
	v_mov_b32_e32 v11, s1
	v_add_co_u32_e32 v4, vcc, s0, v4
	v_addc_co_u32_e32 v5, vcc, v11, v5, vcc
	global_load_ubyte v11, v[4:5], off
	v_lshl_add_u32 v12, v0, 2, 0
	v_cmp_ne_u32_e32 vcc, 0, v0
	s_waitcnt vmcnt(0)
	ds_write_b32 v12, v11 offset:4
	s_and_saveexec_b64 s[0:1], vcc
	s_xor_b64 s[0:1], exec, s[0:1]
	s_cbranch_execz .LBB2_14
; %bb.11:
	v_cmp_eq_u32_e32 vcc, s13, v10
	s_and_saveexec_b64 s[6:7], vcc
	s_cbranch_execz .LBB2_13
; %bb.12:
	global_load_ubyte v4, v[4:5], off offset:1
	s_lshl_b32 s8, s13, 2
	s_add_i32 s8, s8, 0
	v_mov_b32_e32 v5, s8
	s_waitcnt vmcnt(0)
	ds_write_b32 v5, v4 offset:4
.LBB2_13:
	s_or_b64 exec, exec, s[6:7]
                                        ; implicit-def: $vgpr4_vgpr5
.LBB2_14:
	s_andn2_saveexec_b64 s[0:1], s[0:1]
	s_cbranch_execz .LBB2_16
; %bb.15:
	global_load_ubyte v4, v[4:5], off offset:-1
	v_mov_b32_e32 v5, 0
	s_waitcnt vmcnt(0)
	ds_write_b32 v5, v4
.LBB2_16:
	s_or_b64 exec, exec, s[0:1]
.LBB2_17:
	s_or_b64 exec, exec, s[2:3]
	v_cmp_ne_u32_e32 vcc, 0, v0
	s_and_saveexec_b64 s[0:1], vcc
	s_xor_b64 s[0:1], exec, s[0:1]
	s_cbranch_execz .LBB2_21
; %bb.18:
	v_cmp_eq_u32_e32 vcc, s13, v10
	s_and_saveexec_b64 s[2:3], vcc
	s_cbranch_execz .LBB2_20
; %bb.19:
	global_load_ubyte v2, v[2:3], off offset:1
	v_lshl_add_u32 v3, s13, 2, v9
	s_waitcnt vmcnt(0)
	ds_write_b32 v3, v2 offset:4
.LBB2_20:
	s_or_b64 exec, exec, s[2:3]
                                        ; implicit-def: $vgpr2_vgpr3
                                        ; implicit-def: $vgpr9
.LBB2_21:
	s_or_saveexec_b64 s[6:7], s[0:1]
	s_load_dwordx4 s[0:3], s[4:5], 0x8
	s_xor_b64 exec, exec, s[6:7]
	s_cbranch_execz .LBB2_23
; %bb.22:
	global_load_ubyte v2, v[2:3], off offset:-1
	s_waitcnt vmcnt(0)
	ds_write_b32 v9, v2
.LBB2_23:
	s_or_b64 exec, exec, s[6:7]
	s_waitcnt lgkmcnt(0)
	v_mov_b32_e32 v3, s3
	v_add_co_u32_e32 v2, vcc, s2, v6
	v_addc_co_u32_e32 v3, vcc, v3, v7, vcc
	s_barrier
	global_load_ubyte v3, v[2:3], off
	ds_read_b32 v2, v8 offset:4
	s_movk_i32 s2, 0x59
	s_waitcnt lgkmcnt(0)
	v_and_b32_e32 v2, 0xff, v2
	s_waitcnt vmcnt(0)
	v_cmp_lt_i16_e32 vcc, s2, v3
	s_and_saveexec_b64 s[2:3], vcc
	s_xor_b64 s[2:3], exec, s[2:3]
	s_cbranch_execz .LBB2_37
; %bb.24:
	s_movk_i32 s4, 0x86
	v_cmp_lt_i16_e32 vcc, s4, v3
	s_and_saveexec_b64 s[4:5], vcc
	s_xor_b64 s[4:5], exec, s[4:5]
	s_cbranch_execz .LBB2_30
; %bb.25:
	s_movk_i32 s6, 0x87
	v_cmp_eq_u16_e32 vcc, s6, v3
	s_and_saveexec_b64 s[6:7], vcc
	s_cbranch_execz .LBB2_29
; %bb.26:
	v_mul_u32_u24_e32 v1, s12, v1
	v_lshl_add_u32 v1, v1, 2, 0
	v_lshl_add_u32 v3, v0, 2, v1
	ds_read_b32 v3, v3
	s_waitcnt lgkmcnt(0)
	v_cmp_gt_i32_e32 vcc, v2, v3
	v_mov_b32_e32 v3, 0
	s_and_saveexec_b64 s[8:9], vcc
	s_cbranch_execz .LBB2_28
; %bb.27:
	s_lshl_b32 s10, s12, 3
	v_lshlrev_b32_e32 v0, 2, v0
	v_add3_u32 v0, v1, s10, v0
	ds_read_b32 v0, v0 offset:8
	s_waitcnt lgkmcnt(0)
	v_cmp_gt_i32_e32 vcc, v2, v0
	v_cndmask_b32_e32 v3, 0, v2, vcc
.LBB2_28:
	s_or_b64 exec, exec, s[8:9]
	v_mov_b32_e32 v2, v3
.LBB2_29:
	s_or_b64 exec, exec, s[6:7]
                                        ; implicit-def: $vgpr3
                                        ; implicit-def: $vgpr1
                                        ; implicit-def: $vgpr0
.LBB2_30:
	s_andn2_saveexec_b64 s[4:5], s[4:5]
	s_cbranch_execz .LBB2_36
; %bb.31:
	s_movk_i32 s6, 0x5a
	v_cmp_eq_u16_e32 vcc, s6, v3
	s_and_saveexec_b64 s[6:7], vcc
	s_cbranch_execz .LBB2_35
; %bb.32:
	v_mul_u32_u24_e32 v1, s12, v1
	v_lshl_add_u32 v1, v1, 2, 0
	v_lshl_add_u32 v3, v0, 2, v1
	ds_read_b32 v3, v3 offset:4
	s_waitcnt lgkmcnt(0)
	v_cmp_gt_i32_e32 vcc, v2, v3
	v_mov_b32_e32 v3, 0
	s_and_saveexec_b64 s[8:9], vcc
	s_cbranch_execz .LBB2_34
; %bb.33:
	s_lshl_b32 s10, s12, 3
	v_lshlrev_b32_e32 v0, 2, v0
	v_add3_u32 v0, v1, s10, v0
	ds_read_b32 v0, v0 offset:4
	s_waitcnt lgkmcnt(0)
	v_cmp_gt_i32_e32 vcc, v2, v0
	v_cndmask_b32_e32 v3, 0, v2, vcc
.LBB2_34:
	s_or_b64 exec, exec, s[8:9]
	v_mov_b32_e32 v2, v3
.LBB2_35:
	s_or_b64 exec, exec, s[6:7]
.LBB2_36:
	s_or_b64 exec, exec, s[4:5]
                                        ; implicit-def: $vgpr3
                                        ; implicit-def: $vgpr8
                                        ; implicit-def: $vgpr1
                                        ; implicit-def: $vgpr0
.LBB2_37:
	s_andn2_saveexec_b64 s[2:3], s[2:3]
	s_cbranch_execz .LBB2_51
; %bb.38:
	v_cmp_lt_i16_e32 vcc, 44, v3
	s_and_saveexec_b64 s[4:5], vcc
	s_xor_b64 s[4:5], exec, s[4:5]
	s_cbranch_execz .LBB2_44
; %bb.39:
	v_cmp_eq_u16_e32 vcc, 45, v3
	s_and_saveexec_b64 s[6:7], vcc
	s_cbranch_execz .LBB2_43
; %bb.40:
	v_mul_u32_u24_e32 v1, s12, v1
	v_lshl_add_u32 v1, v1, 2, 0
	v_lshl_add_u32 v3, v0, 2, v1
	ds_read_b32 v3, v3 offset:8
	s_waitcnt lgkmcnt(0)
	v_cmp_gt_i32_e32 vcc, v2, v3
	v_mov_b32_e32 v3, 0
	s_and_saveexec_b64 s[8:9], vcc
	s_cbranch_execz .LBB2_42
; %bb.41:
	s_lshl_b32 s10, s12, 3
	v_lshlrev_b32_e32 v0, 2, v0
	v_add3_u32 v0, v1, s10, v0
	ds_read_b32 v0, v0
	s_waitcnt lgkmcnt(0)
	v_cmp_gt_i32_e32 vcc, v2, v0
	v_cndmask_b32_e32 v3, 0, v2, vcc
.LBB2_42:
	s_or_b64 exec, exec, s[8:9]
	v_mov_b32_e32 v2, v3
.LBB2_43:
	s_or_b64 exec, exec, s[6:7]
                                        ; implicit-def: $vgpr3
                                        ; implicit-def: $vgpr8
.LBB2_44:
	s_andn2_saveexec_b64 s[4:5], s[4:5]
	s_cbranch_execz .LBB2_50
; %bb.45:
	v_cmp_eq_u16_e32 vcc, 0, v3
	s_and_saveexec_b64 s[6:7], vcc
	s_cbranch_execz .LBB2_49
; %bb.46:
	ds_read_b32 v0, v8 offset:8
	s_waitcnt lgkmcnt(0)
	v_cmp_gt_i32_e32 vcc, v2, v0
	v_mov_b32_e32 v0, 0
	s_and_saveexec_b64 s[8:9], vcc
	s_cbranch_execz .LBB2_48
; %bb.47:
	ds_read_b32 v0, v8
	s_waitcnt lgkmcnt(0)
	v_cmp_gt_i32_e32 vcc, v2, v0
	v_cndmask_b32_e32 v0, 0, v2, vcc
.LBB2_48:
	s_or_b64 exec, exec, s[8:9]
	v_mov_b32_e32 v2, v0
.LBB2_49:
	s_or_b64 exec, exec, s[6:7]
.LBB2_50:
	s_or_b64 exec, exec, s[4:5]
.LBB2_51:
	s_or_b64 exec, exec, s[2:3]
	v_mov_b32_e32 v1, s1
	v_add_co_u32_e32 v0, vcc, s0, v6
	v_addc_co_u32_e32 v1, vcc, v1, v7, vcc
	global_store_byte v[0:1], v2, off
	s_endpgm
	.section	.rodata,"a",@progbits
	.p2align	6, 0x0
	.amdhsa_kernel _Z19non_max_supp_kernelPKhPhS0_ii
		.amdhsa_group_segment_fixed_size 0
		.amdhsa_private_segment_fixed_size 0
		.amdhsa_kernarg_size 288
		.amdhsa_user_sgpr_count 6
		.amdhsa_user_sgpr_private_segment_buffer 1
		.amdhsa_user_sgpr_dispatch_ptr 0
		.amdhsa_user_sgpr_queue_ptr 0
		.amdhsa_user_sgpr_kernarg_segment_ptr 1
		.amdhsa_user_sgpr_dispatch_id 0
		.amdhsa_user_sgpr_flat_scratch_init 0
		.amdhsa_user_sgpr_private_segment_size 0
		.amdhsa_uses_dynamic_stack 0
		.amdhsa_system_sgpr_private_segment_wavefront_offset 0
		.amdhsa_system_sgpr_workgroup_id_x 1
		.amdhsa_system_sgpr_workgroup_id_y 1
		.amdhsa_system_sgpr_workgroup_id_z 0
		.amdhsa_system_sgpr_workgroup_info 0
		.amdhsa_system_vgpr_workitem_id 1
		.amdhsa_next_free_vgpr 13
		.amdhsa_next_free_sgpr 17
		.amdhsa_reserve_vcc 1
		.amdhsa_reserve_flat_scratch 0
		.amdhsa_float_round_mode_32 0
		.amdhsa_float_round_mode_16_64 0
		.amdhsa_float_denorm_mode_32 3
		.amdhsa_float_denorm_mode_16_64 3
		.amdhsa_dx10_clamp 1
		.amdhsa_ieee_mode 1
		.amdhsa_fp16_overflow 0
		.amdhsa_exception_fp_ieee_invalid_op 0
		.amdhsa_exception_fp_denorm_src 0
		.amdhsa_exception_fp_ieee_div_zero 0
		.amdhsa_exception_fp_ieee_overflow 0
		.amdhsa_exception_fp_ieee_underflow 0
		.amdhsa_exception_fp_ieee_inexact 0
		.amdhsa_exception_int_div_zero 0
	.end_amdhsa_kernel
	.text
.Lfunc_end2:
	.size	_Z19non_max_supp_kernelPKhPhS0_ii, .Lfunc_end2-_Z19non_max_supp_kernelPKhPhS0_ii
                                        ; -- End function
	.set _Z19non_max_supp_kernelPKhPhS0_ii.num_vgpr, 13
	.set _Z19non_max_supp_kernelPKhPhS0_ii.num_agpr, 0
	.set _Z19non_max_supp_kernelPKhPhS0_ii.numbered_sgpr, 17
	.set _Z19non_max_supp_kernelPKhPhS0_ii.num_named_barrier, 0
	.set _Z19non_max_supp_kernelPKhPhS0_ii.private_seg_size, 0
	.set _Z19non_max_supp_kernelPKhPhS0_ii.uses_vcc, 1
	.set _Z19non_max_supp_kernelPKhPhS0_ii.uses_flat_scratch, 0
	.set _Z19non_max_supp_kernelPKhPhS0_ii.has_dyn_sized_stack, 0
	.set _Z19non_max_supp_kernelPKhPhS0_ii.has_recursion, 0
	.set _Z19non_max_supp_kernelPKhPhS0_ii.has_indirect_call, 0
	.section	.AMDGPU.csdata,"",@progbits
; Kernel info:
; codeLenInByte = 1160
; TotalNumSgprs: 21
; NumVgprs: 13
; ScratchSize: 0
; MemoryBound: 0
; FloatMode: 240
; IeeeMode: 1
; LDSByteSize: 0 bytes/workgroup (compile time only)
; SGPRBlocks: 2
; VGPRBlocks: 3
; NumSGPRsForWavesPerEU: 21
; NumVGPRsForWavesPerEU: 13
; Occupancy: 10
; WaveLimiterHint : 0
; COMPUTE_PGM_RSRC2:SCRATCH_EN: 0
; COMPUTE_PGM_RSRC2:USER_SGPR: 6
; COMPUTE_PGM_RSRC2:TRAP_HANDLER: 0
; COMPUTE_PGM_RSRC2:TGID_X_EN: 1
; COMPUTE_PGM_RSRC2:TGID_Y_EN: 1
; COMPUTE_PGM_RSRC2:TGID_Z_EN: 0
; COMPUTE_PGM_RSRC2:TIDIG_COMP_CNT: 1
	.text
	.protected	_Z11hyst_kernelPKhPhii  ; -- Begin function _Z11hyst_kernelPKhPhii
	.globl	_Z11hyst_kernelPKhPhii
	.p2align	8
	.type	_Z11hyst_kernelPKhPhii,@function
_Z11hyst_kernelPKhPhii:                 ; @_Z11hyst_kernelPKhPhii
; %bb.0:
	s_load_dword s8, s[4:5], 0x24
	s_load_dword s9, s[4:5], 0x14
	s_load_dwordx4 s[0:3], s[4:5], 0x0
	s_waitcnt lgkmcnt(0)
	s_lshr_b32 s4, s8, 16
	s_mul_i32 s7, s7, s4
	v_add_u32_e32 v1, s7, v1
	v_mul_lo_u32 v1, s9, v1
	s_and_b32 s4, s8, 0xffff
	s_mul_i32 s6, s6, s4
	v_add_u32_e32 v0, s6, v0
	v_add_u32_e32 v1, s9, v1
	v_add3_u32 v0, v0, v1, 1
	v_ashrrev_i32_e32 v1, 31, v0
	v_mov_b32_e32 v3, s1
	v_add_co_u32_e32 v2, vcc, s0, v0
	v_addc_co_u32_e32 v3, vcc, v3, v1, vcc
	global_load_ubyte v2, v[2:3], off
	s_movk_i32 s0, 0x46
	s_waitcnt vmcnt(0)
	v_cmp_gt_u16_e32 vcc, s0, v2
	s_and_saveexec_b64 s[0:1], vcc
	s_xor_b64 s[4:5], exec, s[0:1]
	s_cbranch_execnz .LBB3_3
; %bb.1:
	s_andn2_saveexec_b64 s[0:1], s[4:5]
	s_cbranch_execnz .LBB3_12
.LBB3_2:
	s_endpgm
.LBB3_3:
	v_cmp_lt_u16_e32 vcc, 10, v2
	s_and_saveexec_b64 s[0:1], vcc
	s_xor_b64 s[6:7], exec, s[0:1]
	s_cbranch_execz .LBB3_9
; %bb.4:
	v_cmp_gt_u16_e32 vcc, 40, v2
	v_mov_b32_e32 v2, s3
	v_add_co_u32_e64 v0, s[0:1], s2, v0
	v_addc_co_u32_e64 v1, s[0:1], v2, v1, s[0:1]
	s_and_saveexec_b64 s[0:1], vcc
	s_xor_b64 s[0:1], exec, s[0:1]
	s_cbranch_execz .LBB3_6
; %bb.5:
	v_mov_b32_e32 v2, 0
	global_store_byte v[0:1], v2, off
                                        ; implicit-def: $vgpr0_vgpr1
.LBB3_6:
	s_andn2_saveexec_b64 s[0:1], s[0:1]
	s_cbranch_execz .LBB3_8
; %bb.7:
	v_mov_b32_e32 v2, 0xff
	global_store_byte v[0:1], v2, off
.LBB3_8:
	s_or_b64 exec, exec, s[0:1]
                                        ; implicit-def: $vgpr0_vgpr1
.LBB3_9:
	s_andn2_saveexec_b64 s[0:1], s[6:7]
	s_cbranch_execz .LBB3_11
; %bb.10:
	v_mov_b32_e32 v2, s3
	v_add_co_u32_e32 v0, vcc, s2, v0
	v_addc_co_u32_e32 v1, vcc, v2, v1, vcc
	v_mov_b32_e32 v2, 0
	global_store_byte v[0:1], v2, off
.LBB3_11:
	s_or_b64 exec, exec, s[0:1]
                                        ; implicit-def: $vgpr0_vgpr1
	s_andn2_saveexec_b64 s[0:1], s[4:5]
	s_cbranch_execz .LBB3_2
.LBB3_12:
	v_mov_b32_e32 v2, s3
	v_add_co_u32_e32 v0, vcc, s2, v0
	v_addc_co_u32_e32 v1, vcc, v2, v1, vcc
	v_mov_b32_e32 v2, 0xff
	global_store_byte v[0:1], v2, off
	s_endpgm
	.section	.rodata,"a",@progbits
	.p2align	6, 0x0
	.amdhsa_kernel _Z11hyst_kernelPKhPhii
		.amdhsa_group_segment_fixed_size 0
		.amdhsa_private_segment_fixed_size 0
		.amdhsa_kernarg_size 280
		.amdhsa_user_sgpr_count 6
		.amdhsa_user_sgpr_private_segment_buffer 1
		.amdhsa_user_sgpr_dispatch_ptr 0
		.amdhsa_user_sgpr_queue_ptr 0
		.amdhsa_user_sgpr_kernarg_segment_ptr 1
		.amdhsa_user_sgpr_dispatch_id 0
		.amdhsa_user_sgpr_flat_scratch_init 0
		.amdhsa_user_sgpr_private_segment_size 0
		.amdhsa_uses_dynamic_stack 0
		.amdhsa_system_sgpr_private_segment_wavefront_offset 0
		.amdhsa_system_sgpr_workgroup_id_x 1
		.amdhsa_system_sgpr_workgroup_id_y 1
		.amdhsa_system_sgpr_workgroup_id_z 0
		.amdhsa_system_sgpr_workgroup_info 0
		.amdhsa_system_vgpr_workitem_id 1
		.amdhsa_next_free_vgpr 4
		.amdhsa_next_free_sgpr 10
		.amdhsa_reserve_vcc 1
		.amdhsa_reserve_flat_scratch 0
		.amdhsa_float_round_mode_32 0
		.amdhsa_float_round_mode_16_64 0
		.amdhsa_float_denorm_mode_32 3
		.amdhsa_float_denorm_mode_16_64 3
		.amdhsa_dx10_clamp 1
		.amdhsa_ieee_mode 1
		.amdhsa_fp16_overflow 0
		.amdhsa_exception_fp_ieee_invalid_op 0
		.amdhsa_exception_fp_denorm_src 0
		.amdhsa_exception_fp_ieee_div_zero 0
		.amdhsa_exception_fp_ieee_overflow 0
		.amdhsa_exception_fp_ieee_underflow 0
		.amdhsa_exception_fp_ieee_inexact 0
		.amdhsa_exception_int_div_zero 0
	.end_amdhsa_kernel
	.text
.Lfunc_end3:
	.size	_Z11hyst_kernelPKhPhii, .Lfunc_end3-_Z11hyst_kernelPKhPhii
                                        ; -- End function
	.set _Z11hyst_kernelPKhPhii.num_vgpr, 4
	.set _Z11hyst_kernelPKhPhii.num_agpr, 0
	.set _Z11hyst_kernelPKhPhii.numbered_sgpr, 10
	.set _Z11hyst_kernelPKhPhii.num_named_barrier, 0
	.set _Z11hyst_kernelPKhPhii.private_seg_size, 0
	.set _Z11hyst_kernelPKhPhii.uses_vcc, 1
	.set _Z11hyst_kernelPKhPhii.uses_flat_scratch, 0
	.set _Z11hyst_kernelPKhPhii.has_dyn_sized_stack, 0
	.set _Z11hyst_kernelPKhPhii.has_recursion, 0
	.set _Z11hyst_kernelPKhPhii.has_indirect_call, 0
	.section	.AMDGPU.csdata,"",@progbits
; Kernel info:
; codeLenInByte = 304
; TotalNumSgprs: 14
; NumVgprs: 4
; ScratchSize: 0
; MemoryBound: 0
; FloatMode: 240
; IeeeMode: 1
; LDSByteSize: 0 bytes/workgroup (compile time only)
; SGPRBlocks: 1
; VGPRBlocks: 0
; NumSGPRsForWavesPerEU: 14
; NumVGPRsForWavesPerEU: 4
; Occupancy: 10
; WaveLimiterHint : 0
; COMPUTE_PGM_RSRC2:SCRATCH_EN: 0
; COMPUTE_PGM_RSRC2:USER_SGPR: 6
; COMPUTE_PGM_RSRC2:TRAP_HANDLER: 0
; COMPUTE_PGM_RSRC2:TGID_X_EN: 1
; COMPUTE_PGM_RSRC2:TGID_Y_EN: 1
; COMPUTE_PGM_RSRC2:TGID_Z_EN: 0
; COMPUTE_PGM_RSRC2:TIDIG_COMP_CNT: 1
	.section	.AMDGPU.gpr_maximums,"",@progbits
	.set amdgpu.max_num_vgpr, 0
	.set amdgpu.max_num_agpr, 0
	.set amdgpu.max_num_sgpr, 0
	.section	.AMDGPU.csdata,"",@progbits
	.protected	c_gaus                  ; @c_gaus
	.type	c_gaus,@object
	.section	.rodata,"a",@progbits
	.globl	c_gaus
	.p2align	4, 0x0
c_gaus:
	.long	0x3d800000                      ; float 0.0625
	.long	0x3e000000                      ; float 0.125
	.long	0x3d800000                      ; float 0.0625
	.long	0x3e000000                      ; float 0.125
	.long	0x3e800000                      ; float 0.25
	.long	0x3e000000                      ; float 0.125
	.long	0x3d800000                      ; float 0.0625
	.long	0x3e000000                      ; float 0.125
	.long	0x3d800000                      ; float 0.0625
	.size	c_gaus, 36

	.protected	c_sobx                  ; @c_sobx
	.type	c_sobx,@object
	.globl	c_sobx
	.p2align	4, 0x0
c_sobx:
	.long	4294967295                      ; 0xffffffff
	.long	0                               ; 0x0
	.long	1                               ; 0x1
	.long	4294967294                      ; 0xfffffffe
	.long	0                               ; 0x0
	.long	2                               ; 0x2
	;; [unrolled: 3-line block ×3, first 2 shown]
	.size	c_sobx, 36

	.protected	c_soby                  ; @c_soby
	.type	c_soby,@object
	.globl	c_soby
	.p2align	4, 0x0
c_soby:
	.long	4294967295                      ; 0xffffffff
	.long	4294967294                      ; 0xfffffffe
	;; [unrolled: 1-line block ×3, first 2 shown]
	.long	0                               ; 0x0
	.long	0                               ; 0x0
	;; [unrolled: 1-line block ×6, first 2 shown]
	.size	c_soby, 36

	.type	__hip_cuid_9bc9904e80091bad,@object ; @__hip_cuid_9bc9904e80091bad
	.section	.bss,"aw",@nobits
	.globl	__hip_cuid_9bc9904e80091bad
__hip_cuid_9bc9904e80091bad:
	.byte	0                               ; 0x0
	.size	__hip_cuid_9bc9904e80091bad, 1

	.ident	"AMD clang version 22.0.0git (https://github.com/RadeonOpenCompute/llvm-project roc-7.2.4 26084 f58b06dce1f9c15707c5f808fd002e18c2accf7e)"
	.section	".note.GNU-stack","",@progbits
	.addrsig
	.addrsig_sym c_gaus
	.addrsig_sym c_sobx
	.addrsig_sym c_soby
	.addrsig_sym __hip_cuid_9bc9904e80091bad
	.amdgpu_metadata
---
amdhsa.kernels:
  - .args:
      - .actual_access:  read_only
        .address_space:  global
        .offset:         0
        .size:           8
        .value_kind:     global_buffer
      - .actual_access:  write_only
        .address_space:  global
        .offset:         8
        .size:           8
        .value_kind:     global_buffer
      - .offset:         16
        .size:           4
        .value_kind:     by_value
      - .offset:         20
        .size:           4
        .value_kind:     by_value
      - .offset:         24
        .size:           4
        .value_kind:     hidden_block_count_x
      - .offset:         28
        .size:           4
        .value_kind:     hidden_block_count_y
      - .offset:         32
        .size:           4
        .value_kind:     hidden_block_count_z
      - .offset:         36
        .size:           2
        .value_kind:     hidden_group_size_x
      - .offset:         38
        .size:           2
        .value_kind:     hidden_group_size_y
      - .offset:         40
        .size:           2
        .value_kind:     hidden_group_size_z
      - .offset:         42
        .size:           2
        .value_kind:     hidden_remainder_x
      - .offset:         44
        .size:           2
        .value_kind:     hidden_remainder_y
      - .offset:         46
        .size:           2
        .value_kind:     hidden_remainder_z
      - .offset:         64
        .size:           8
        .value_kind:     hidden_global_offset_x
      - .offset:         72
        .size:           8
        .value_kind:     hidden_global_offset_y
      - .offset:         80
        .size:           8
        .value_kind:     hidden_global_offset_z
      - .offset:         88
        .size:           2
        .value_kind:     hidden_grid_dims
      - .offset:         144
        .size:           4
        .value_kind:     hidden_dynamic_lds_size
    .group_segment_fixed_size: 0
    .kernarg_segment_align: 8
    .kernarg_segment_size: 280
    .language:       OpenCL C
    .language_version:
      - 2
      - 0
    .max_flat_workgroup_size: 1024
    .name:           _Z15gaussian_kernelPKhPhii
    .private_segment_fixed_size: 0
    .sgpr_count:     21
    .sgpr_spill_count: 0
    .symbol:         _Z15gaussian_kernelPKhPhii.kd
    .uniform_work_group_size: 1
    .uses_dynamic_stack: false
    .vgpr_count:     13
    .vgpr_spill_count: 0
    .wavefront_size: 64
  - .args:
      - .actual_access:  read_only
        .address_space:  global
        .offset:         0
        .size:           8
        .value_kind:     global_buffer
      - .actual_access:  write_only
        .address_space:  global
        .offset:         8
        .size:           8
        .value_kind:     global_buffer
      - .actual_access:  write_only
        .address_space:  global
        .offset:         16
        .size:           8
        .value_kind:     global_buffer
      - .offset:         24
        .size:           4
        .value_kind:     by_value
      - .offset:         28
        .size:           4
        .value_kind:     by_value
      - .offset:         32
        .size:           4
        .value_kind:     hidden_block_count_x
      - .offset:         36
        .size:           4
        .value_kind:     hidden_block_count_y
      - .offset:         40
        .size:           4
        .value_kind:     hidden_block_count_z
      - .offset:         44
        .size:           2
        .value_kind:     hidden_group_size_x
      - .offset:         46
        .size:           2
        .value_kind:     hidden_group_size_y
      - .offset:         48
        .size:           2
        .value_kind:     hidden_group_size_z
      - .offset:         50
        .size:           2
        .value_kind:     hidden_remainder_x
      - .offset:         52
        .size:           2
        .value_kind:     hidden_remainder_y
      - .offset:         54
        .size:           2
        .value_kind:     hidden_remainder_z
      - .offset:         72
        .size:           8
        .value_kind:     hidden_global_offset_x
      - .offset:         80
        .size:           8
        .value_kind:     hidden_global_offset_y
      - .offset:         88
        .size:           8
        .value_kind:     hidden_global_offset_z
      - .offset:         96
        .size:           2
        .value_kind:     hidden_grid_dims
      - .offset:         152
        .size:           4
        .value_kind:     hidden_dynamic_lds_size
    .group_segment_fixed_size: 0
    .kernarg_segment_align: 8
    .kernarg_segment_size: 288
    .language:       OpenCL C
    .language_version:
      - 2
      - 0
    .max_flat_workgroup_size: 1024
    .name:           _Z12sobel_kernelPKhPhS1_ii
    .private_segment_fixed_size: 0
    .sgpr_count:     29
    .sgpr_spill_count: 0
    .symbol:         _Z12sobel_kernelPKhPhS1_ii.kd
    .uniform_work_group_size: 1
    .uses_dynamic_stack: false
    .vgpr_count:     13
    .vgpr_spill_count: 0
    .wavefront_size: 64
  - .args:
      - .actual_access:  read_only
        .address_space:  global
        .offset:         0
        .size:           8
        .value_kind:     global_buffer
      - .actual_access:  write_only
        .address_space:  global
        .offset:         8
        .size:           8
        .value_kind:     global_buffer
      - .actual_access:  read_only
        .address_space:  global
        .offset:         16
        .size:           8
        .value_kind:     global_buffer
      - .offset:         24
        .size:           4
        .value_kind:     by_value
      - .offset:         28
        .size:           4
        .value_kind:     by_value
      - .offset:         32
        .size:           4
        .value_kind:     hidden_block_count_x
      - .offset:         36
        .size:           4
        .value_kind:     hidden_block_count_y
      - .offset:         40
        .size:           4
        .value_kind:     hidden_block_count_z
      - .offset:         44
        .size:           2
        .value_kind:     hidden_group_size_x
      - .offset:         46
        .size:           2
        .value_kind:     hidden_group_size_y
      - .offset:         48
        .size:           2
        .value_kind:     hidden_group_size_z
      - .offset:         50
        .size:           2
        .value_kind:     hidden_remainder_x
      - .offset:         52
        .size:           2
        .value_kind:     hidden_remainder_y
      - .offset:         54
        .size:           2
        .value_kind:     hidden_remainder_z
      - .offset:         72
        .size:           8
        .value_kind:     hidden_global_offset_x
      - .offset:         80
        .size:           8
        .value_kind:     hidden_global_offset_y
      - .offset:         88
        .size:           8
        .value_kind:     hidden_global_offset_z
      - .offset:         96
        .size:           2
        .value_kind:     hidden_grid_dims
      - .offset:         152
        .size:           4
        .value_kind:     hidden_dynamic_lds_size
    .group_segment_fixed_size: 0
    .kernarg_segment_align: 8
    .kernarg_segment_size: 288
    .language:       OpenCL C
    .language_version:
      - 2
      - 0
    .max_flat_workgroup_size: 1024
    .name:           _Z19non_max_supp_kernelPKhPhS0_ii
    .private_segment_fixed_size: 0
    .sgpr_count:     21
    .sgpr_spill_count: 0
    .symbol:         _Z19non_max_supp_kernelPKhPhS0_ii.kd
    .uniform_work_group_size: 1
    .uses_dynamic_stack: false
    .vgpr_count:     13
    .vgpr_spill_count: 0
    .wavefront_size: 64
  - .args:
      - .actual_access:  read_only
        .address_space:  global
        .offset:         0
        .size:           8
        .value_kind:     global_buffer
      - .actual_access:  write_only
        .address_space:  global
        .offset:         8
        .size:           8
        .value_kind:     global_buffer
      - .offset:         16
        .size:           4
        .value_kind:     by_value
      - .offset:         20
        .size:           4
        .value_kind:     by_value
      - .offset:         24
        .size:           4
        .value_kind:     hidden_block_count_x
      - .offset:         28
        .size:           4
        .value_kind:     hidden_block_count_y
      - .offset:         32
        .size:           4
        .value_kind:     hidden_block_count_z
      - .offset:         36
        .size:           2
        .value_kind:     hidden_group_size_x
      - .offset:         38
        .size:           2
        .value_kind:     hidden_group_size_y
      - .offset:         40
        .size:           2
        .value_kind:     hidden_group_size_z
      - .offset:         42
        .size:           2
        .value_kind:     hidden_remainder_x
      - .offset:         44
        .size:           2
        .value_kind:     hidden_remainder_y
      - .offset:         46
        .size:           2
        .value_kind:     hidden_remainder_z
      - .offset:         64
        .size:           8
        .value_kind:     hidden_global_offset_x
      - .offset:         72
        .size:           8
        .value_kind:     hidden_global_offset_y
      - .offset:         80
        .size:           8
        .value_kind:     hidden_global_offset_z
      - .offset:         88
        .size:           2
        .value_kind:     hidden_grid_dims
    .group_segment_fixed_size: 0
    .kernarg_segment_align: 8
    .kernarg_segment_size: 280
    .language:       OpenCL C
    .language_version:
      - 2
      - 0
    .max_flat_workgroup_size: 1024
    .name:           _Z11hyst_kernelPKhPhii
    .private_segment_fixed_size: 0
    .sgpr_count:     14
    .sgpr_spill_count: 0
    .symbol:         _Z11hyst_kernelPKhPhii.kd
    .uniform_work_group_size: 1
    .uses_dynamic_stack: false
    .vgpr_count:     4
    .vgpr_spill_count: 0
    .wavefront_size: 64
amdhsa.target:   amdgcn-amd-amdhsa--gfx906
amdhsa.version:
  - 1
  - 2
...

	.end_amdgpu_metadata
